;; amdgpu-corpus repo=ROCm/bitsandbytes kind=harvested arch=n/a opt=n/a
	.text
	.amdgcn_target "amdgcn-amd-amdhsa--gfx1100"
	.amdhsa_code_object_version 6
	.protected	_Z16kInt8VectorQuantI6__halfLi1024ELi0EEvPT_PaPffii ; -- Begin function _Z16kInt8VectorQuantI6__halfLi1024ELi0EEvPT_PaPffii
	.globl	_Z16kInt8VectorQuantI6__halfLi1024ELi0EEvPT_PaPffii
	.p2align	8
	.type	_Z16kInt8VectorQuantI6__halfLi1024ELi0EEvPT_PaPffii,@function
_Z16kInt8VectorQuantI6__halfLi1024ELi0EEvPT_PaPffii: ; @_Z16kInt8VectorQuantI6__halfLi1024ELi0EEvPT_PaPffii
; %bb.0:
	s_clause 0x1
	s_load_b32 s14, s[0:1], 0x20
	s_load_b64 s[8:9], s[0:1], 0x0
	v_mov_b32_e32 v3, 0x80800000
	s_mov_b32 s12, s15
	s_waitcnt lgkmcnt(0)
	v_cmp_gt_i32_e32 vcc_lo, s14, v0
	s_mul_i32 s10, s15, s14
	s_delay_alu instid0(SALU_CYCLE_1)
	s_ashr_i32 s11, s10, 31
	s_and_saveexec_b32 s4, vcc_lo
	s_cbranch_execz .LBB4_4
; %bb.1:
	v_dual_mov_b32 v4, v0 :: v_dual_lshlrev_b32 v1, 1, v0
	s_lshl_b64 s[2:3], s[10:11], 1
	v_mov_b32_e32 v3, 0x80800000
	s_add_u32 s2, s8, s2
	s_addc_u32 s3, s9, s3
	v_add_co_u32 v1, s2, s2, v1
	s_delay_alu instid0(VALU_DEP_1)
	v_add_co_ci_u32_e64 v2, null, s3, 0, s2
	s_mov_b32 s5, 0
	.p2align	6
.LBB4_2:                                ; =>This Inner Loop Header: Depth=1
	global_load_u16 v5, v[1:2], off
	v_dual_max_f32 v3, v3, v3 :: v_dual_add_nc_u32 v4, 0x400, v4
	v_add_co_u32 v1, s2, 0x800, v1
	s_delay_alu instid0(VALU_DEP_1) | instskip(NEXT) | instid1(VALU_DEP_3)
	v_add_co_ci_u32_e64 v2, s2, 0, v2, s2
	v_cmp_le_i32_e64 s3, s14, v4
	s_delay_alu instid0(VALU_DEP_1) | instskip(SKIP_2) | instid1(VALU_DEP_1)
	s_or_b32 s5, s3, s5
	s_waitcnt vmcnt(0)
	v_cvt_f32_f16_e64 v5, |v5|
	v_max_f32_e32 v3, v3, v5
	s_and_not1_b32 exec_lo, exec_lo, s5
	s_cbranch_execnz .LBB4_2
; %bb.3:
	s_or_b32 exec_lo, exec_lo, s5
.LBB4_4:
	s_delay_alu instid0(SALU_CYCLE_1) | instskip(SKIP_2) | instid1(VALU_DEP_2)
	s_or_b32 exec_lo, exec_lo, s4
	v_mbcnt_lo_u32_b32 v1, -1, 0
	v_and_b32_e32 v4, 0x3e0, v0
	v_cmp_ne_u32_e64 s2, 31, v1
	s_delay_alu instid0(VALU_DEP_2)
	v_sub_nc_u32_e64 v13, s14, v4 clamp
	v_add_nc_u32_e32 v4, 1, v1
	v_cmp_gt_u32_e64 s3, 28, v1
	v_cmp_gt_u32_e64 s4, 24, v1
	v_add_co_ci_u32_e64 v2, s2, 0, v1, s2
	v_cmp_gt_u32_e64 s2, 30, v1
	s_delay_alu instid0(VALU_DEP_4) | instskip(NEXT) | instid1(VALU_DEP_4)
	v_cndmask_b32_e64 v9, 0, 1, s3
	v_cndmask_b32_e64 v11, 0, 1, s4
	s_delay_alu instid0(VALU_DEP_4)
	v_lshlrev_b32_e32 v2, 2, v2
	v_cmp_gt_u32_e64 s5, 16, v1
	v_cndmask_b32_e64 v6, 0, 1, s2
	v_lshlrev_b32_e32 v9, 2, v9
	v_lshlrev_b32_e32 v11, 3, v11
	ds_bpermute_b32 v5, v2, v3
	v_cndmask_b32_e64 v14, 0, 1, s5
	v_lshlrev_b32_e32 v6, 1, v6
	s_delay_alu instid0(VALU_DEP_2) | instskip(SKIP_2) | instid1(VALU_DEP_1)
	v_lshlrev_b32_e32 v14, 4, v14
	s_waitcnt lgkmcnt(0)
	v_cmp_lt_f32_e64 s2, v3, v5
	v_cndmask_b32_e64 v7, v3, v5, s2
	v_cmp_lt_u32_e64 s2, v4, v13
	v_add_lshl_u32 v5, v6, v1, 2
	v_add_nc_u32_e32 v6, 2, v1
	s_delay_alu instid0(VALU_DEP_3) | instskip(SKIP_3) | instid1(VALU_DEP_1)
	v_cndmask_b32_e64 v8, v3, v7, s2
	ds_bpermute_b32 v7, v5, v8
	s_waitcnt lgkmcnt(0)
	v_cmp_lt_f32_e64 s3, v8, v7
	v_cndmask_b32_e64 v10, v8, v7, s3
	v_cmp_lt_u32_e64 s3, v6, v13
	v_add_lshl_u32 v7, v9, v1, 2
	s_delay_alu instid0(VALU_DEP_2)
	v_cndmask_b32_e64 v10, v8, v10, s3
	v_add_nc_u32_e32 v8, 4, v1
	s_or_b32 s2, s2, s3
	ds_bpermute_b32 v9, v7, v10
	s_waitcnt lgkmcnt(0)
	v_cmp_lt_f32_e64 s4, v10, v9
	s_delay_alu instid0(VALU_DEP_1) | instskip(SKIP_2) | instid1(VALU_DEP_2)
	v_cndmask_b32_e64 v12, v10, v9, s4
	v_cmp_lt_u32_e64 s4, v8, v13
	v_add_lshl_u32 v9, v11, v1, 2
	v_cndmask_b32_e64 v12, v10, v12, s4
	v_add_nc_u32_e32 v10, 8, v1
	s_or_b32 s3, s4, s2
	ds_bpermute_b32 v11, v9, v12
	s_waitcnt lgkmcnt(0)
	v_cmp_lt_f32_e64 s5, v12, v11
	s_delay_alu instid0(VALU_DEP_1) | instskip(SKIP_2) | instid1(VALU_DEP_2)
	v_cndmask_b32_e64 v15, v12, v11, s5
	v_cmp_lt_u32_e64 s5, v10, v13
	v_add_lshl_u32 v11, v14, v1, 2
	v_cndmask_b32_e64 v14, v12, v15, s5
	v_add_nc_u32_e32 v12, 16, v1
	ds_bpermute_b32 v15, v11, v14
	v_cmp_lt_u32_e64 s6, v12, v13
	s_waitcnt lgkmcnt(0)
	v_cmp_lt_f32_e64 s7, v14, v15
	s_delay_alu instid0(VALU_DEP_1) | instskip(NEXT) | instid1(SALU_CYCLE_1)
	s_and_b32 s2, s6, s7
	v_cndmask_b32_e64 v13, v14, v15, s2
	s_or_b32 s2, s5, s3
	s_mov_b32 s3, exec_lo
	s_or_b32 s2, s6, s2
	s_delay_alu instid0(VALU_DEP_1) | instid1(SALU_CYCLE_1)
	v_cndmask_b32_e64 v3, v3, v13, s2
	v_cmpx_eq_u32_e32 0, v1
	s_cbranch_execz .LBB4_6
; %bb.5:
	v_lshrrev_b32_e32 v13, 3, v0
	s_delay_alu instid0(VALU_DEP_1)
	v_and_b32_e32 v13, 0x7c, v13
	ds_store_b32 v13, v3
.LBB4_6:
	s_or_b32 exec_lo, exec_lo, s3
	s_delay_alu instid0(SALU_CYCLE_1)
	s_mov_b32 s13, exec_lo
	s_waitcnt lgkmcnt(0)
	s_barrier
	buffer_gl0_inv
	v_cmpx_gt_u32_e32 32, v0
	s_cbranch_execz .LBB4_8
; %bb.7:
	v_lshlrev_b32_e32 v1, 2, v1
	s_add_i32 s3, s14, 31
	s_delay_alu instid0(SALU_CYCLE_1)
	s_lshr_b32 s6, s3, 5
	ds_load_b32 v1, v1
	s_waitcnt lgkmcnt(0)
	ds_bpermute_b32 v2, v2, v1
	s_waitcnt lgkmcnt(0)
	v_cmp_lt_f32_e64 s2, v1, v2
	s_delay_alu instid0(VALU_DEP_1) | instskip(SKIP_1) | instid1(VALU_DEP_1)
	v_cndmask_b32_e64 v2, v1, v2, s2
	v_cmp_gt_u32_e64 s2, s6, v4
	v_cndmask_b32_e64 v2, v1, v2, s2
	ds_bpermute_b32 v3, v5, v2
	s_waitcnt lgkmcnt(0)
	v_cmp_lt_f32_e64 s3, v2, v3
	s_delay_alu instid0(VALU_DEP_1) | instskip(SKIP_1) | instid1(VALU_DEP_1)
	v_cndmask_b32_e64 v3, v2, v3, s3
	v_cmp_gt_u32_e64 s3, s6, v6
	v_cndmask_b32_e64 v2, v2, v3, s3
	s_or_b32 s2, s2, s3
	ds_bpermute_b32 v3, v7, v2
	s_waitcnt lgkmcnt(0)
	v_cmp_lt_f32_e64 s4, v2, v3
	s_delay_alu instid0(VALU_DEP_1) | instskip(SKIP_1) | instid1(VALU_DEP_1)
	v_cndmask_b32_e64 v3, v2, v3, s4
	v_cmp_gt_u32_e64 s4, s6, v8
	v_cndmask_b32_e64 v2, v2, v3, s4
	s_or_b32 s3, s4, s2
	ds_bpermute_b32 v3, v9, v2
	s_waitcnt lgkmcnt(0)
	v_cmp_lt_f32_e64 s5, v2, v3
	s_delay_alu instid0(VALU_DEP_1) | instskip(SKIP_2) | instid1(VALU_DEP_2)
	v_cndmask_b32_e64 v3, v2, v3, s5
	v_cmp_gt_u32_e64 s5, s6, v10
	v_cmp_gt_u32_e64 s6, s6, v12
	v_cndmask_b32_e64 v2, v2, v3, s5
	ds_bpermute_b32 v3, v11, v2
	s_waitcnt lgkmcnt(0)
	v_cmp_lt_f32_e64 s7, v2, v3
	s_delay_alu instid0(VALU_DEP_1) | instskip(NEXT) | instid1(SALU_CYCLE_1)
	s_and_b32 s2, s6, s7
	v_cndmask_b32_e64 v2, v2, v3, s2
	s_or_b32 s2, s5, s3
	s_delay_alu instid0(SALU_CYCLE_1)
	s_or_b32 s2, s6, s2
	s_delay_alu instid0(VALU_DEP_1) | instid1(SALU_CYCLE_1)
	v_cndmask_b32_e64 v3, v1, v2, s2
.LBB4_8:
	s_or_b32 exec_lo, exec_lo, s13
	s_load_b128 s[4:7], s[0:1], 0x8
	s_mov_b32 s1, exec_lo
	v_cmpx_eq_u32_e32 0, v0
	s_cbranch_execz .LBB4_10
; %bb.9:
	s_ashr_i32 s13, s12, 31
	v_mov_b32_e32 v1, 0
	s_lshl_b64 s[2:3], s[12:13], 2
	s_waitcnt lgkmcnt(0)
	s_add_u32 s2, s6, s2
	s_addc_u32 s3, s7, s3
	ds_store_b32 v1, v3 offset:128
	global_store_b32 v1, v3, s[2:3]
.LBB4_10:
	s_or_b32 exec_lo, exec_lo, s1
	s_waitcnt lgkmcnt(0)
	s_waitcnt_vscnt null, 0x0
	s_barrier
	buffer_gl0_inv
	s_and_saveexec_b32 s0, vcc_lo
	s_cbranch_execz .LBB4_18
; %bb.11:
	v_mov_b32_e32 v2, 0
	s_mov_b32 s0, -1
	s_mov_b32 s2, exec_lo
	ds_load_b32 v3, v2 offset:128
	s_waitcnt lgkmcnt(0)
	v_div_scale_f32 v1, null, v3, v3, 0x42fe0000
	v_div_scale_f32 v6, vcc_lo, 0x42fe0000, v3, 0x42fe0000
	s_delay_alu instid0(VALU_DEP_2) | instskip(SKIP_2) | instid1(VALU_DEP_1)
	v_rcp_f32_e32 v4, v1
	s_waitcnt_depctr 0xfff
	v_fma_f32 v5, -v1, v4, 1.0
	v_fmac_f32_e32 v4, v5, v4
	s_delay_alu instid0(VALU_DEP_1) | instskip(NEXT) | instid1(VALU_DEP_1)
	v_mul_f32_e32 v5, v6, v4
	v_fma_f32 v7, -v1, v5, v6
	s_delay_alu instid0(VALU_DEP_1) | instskip(NEXT) | instid1(VALU_DEP_1)
	v_fmac_f32_e32 v5, v7, v4
	v_fma_f32 v1, -v1, v5, v6
	s_delay_alu instid0(VALU_DEP_1) | instskip(SKIP_1) | instid1(VALU_DEP_2)
	v_div_fmas_f32 v4, v1, v4, v5
	v_xad_u32 v1, v0, -1, s14
	v_div_fixup_f32 v5, v4, v3, 0x42fe0000
	s_delay_alu instid0(VALU_DEP_2)
	v_cmpx_lt_u32_e32 0x3ff, v1
	s_cbranch_execz .LBB4_15
; %bb.12:
	v_lshrrev_b32_e32 v1, 10, v1
	s_lshl_b64 s[0:1], s[10:11], 1
	s_mov_b32 s7, s10
	s_add_u32 s3, s8, s0
	s_addc_u32 s6, s9, s1
	v_add_nc_u32_e32 v6, 1, v1
	v_or_b32_e32 v1, 0x400, v0
	s_mov_b32 s13, s10
	s_mov_b32 s12, 0
	s_delay_alu instid0(VALU_DEP_1) | instskip(SKIP_1) | instid1(VALU_DEP_1)
	v_dual_mov_b32 v4, v1 :: v_dual_mov_b32 v3, v0
	v_and_b32_e32 v7, 0x7ffffe, v6
	v_mov_b32_e32 v8, v7
.LBB4_13:                               ; =>This Inner Loop Header: Depth=1
	s_delay_alu instid0(VALU_DEP_1) | instskip(NEXT) | instid1(VALU_DEP_1)
	v_dual_mov_b32 v1, v3 :: v_dual_add_nc_u32 v8, -2, v8
	v_lshlrev_b64 v[9:10], 1, v[1:2]
	v_mov_b32_e32 v1, v4
	s_delay_alu instid0(VALU_DEP_3) | instskip(NEXT) | instid1(VALU_DEP_2)
	v_cmp_eq_u32_e64 s0, 0, v8
	v_lshlrev_b64 v[11:12], 1, v[1:2]
	s_delay_alu instid0(VALU_DEP_4) | instskip(SKIP_1) | instid1(VALU_DEP_4)
	v_add_co_u32 v9, vcc_lo, s3, v9
	v_add_co_ci_u32_e32 v10, vcc_lo, s6, v10, vcc_lo
	s_or_b32 s12, s0, s12
	s_delay_alu instid0(VALU_DEP_3) | instskip(NEXT) | instid1(VALU_DEP_4)
	v_add_co_u32 v11, vcc_lo, s3, v11
	v_add_co_ci_u32_e32 v12, vcc_lo, s6, v12, vcc_lo
	s_clause 0x1
	global_load_u16 v1, v[9:10], off
	global_load_u16 v9, v[11:12], off
	v_add_nc_u32_e32 v10, s13, v4
	v_add_nc_u32_e32 v4, 0x800, v4
	s_delay_alu instid0(VALU_DEP_2)
	v_ashrrev_i32_e32 v13, 31, v10
	s_waitcnt vmcnt(1)
	v_cvt_f32_f16_e32 v1, v1
	s_waitcnt vmcnt(0)
	v_cvt_f32_f16_e32 v14, v9
	v_add_nc_u32_e32 v11, s7, v3
	v_add_co_u32 v9, vcc_lo, s4, v10
	v_mul_f32_e32 v1, v5, v1
	s_delay_alu instid0(VALU_DEP_4) | instskip(NEXT) | instid1(VALU_DEP_4)
	v_mul_f32_e32 v10, v5, v14
	v_ashrrev_i32_e32 v12, 31, v11
	v_add_co_u32 v11, s1, s4, v11
	s_delay_alu instid0(VALU_DEP_4) | instskip(NEXT) | instid1(VALU_DEP_4)
	v_rndne_f32_e32 v1, v1
	v_rndne_f32_e32 v14, v10
	v_add_nc_u32_e32 v3, 0x800, v3
	v_add_co_ci_u32_e64 v12, s1, s5, v12, s1
	s_delay_alu instid0(VALU_DEP_4)
	v_cvt_i32_f32_e32 v1, v1
	v_add_co_ci_u32_e32 v10, vcc_lo, s5, v13, vcc_lo
	v_cvt_i32_f32_e32 v13, v14
	s_clause 0x1
	global_store_b8 v[11:12], v1, off
	global_store_b8 v[9:10], v13, off
	s_and_not1_b32 exec_lo, exec_lo, s12
	s_cbranch_execnz .LBB4_13
; %bb.14:
	s_or_b32 exec_lo, exec_lo, s12
	v_cmp_ne_u32_e32 vcc_lo, v6, v7
	v_lshl_or_b32 v0, v7, 10, v0
	s_or_not1_b32 s0, vcc_lo, exec_lo
.LBB4_15:
	s_or_b32 exec_lo, exec_lo, s2
	s_delay_alu instid0(SALU_CYCLE_1)
	s_and_b32 exec_lo, exec_lo, s0
	s_cbranch_execz .LBB4_18
; %bb.16:
	v_mov_b32_e32 v1, 0
	v_ashrrev_i32_e32 v2, 31, v0
	s_add_u32 s2, s4, s10
	s_addc_u32 s3, s5, s11
	s_lshl_b64 s[0:1], s[10:11], 1
	v_lshlrev_b64 v[3:4], 1, v[0:1]
	v_add_co_u32 v1, vcc_lo, s2, v0
	s_add_u32 s0, s8, s0
	v_add_co_ci_u32_e32 v2, vcc_lo, s3, v2, vcc_lo
	s_addc_u32 s1, s9, s1
	s_delay_alu instid0(VALU_DEP_3)
	v_add_co_u32 v3, vcc_lo, s0, v3
	v_add_co_ci_u32_e32 v4, vcc_lo, s1, v4, vcc_lo
	s_mov_b32 s1, 0
	.p2align	6
.LBB4_17:                               ; =>This Inner Loop Header: Depth=1
	global_load_u16 v6, v[3:4], off
	v_add_nc_u32_e32 v0, 0x400, v0
	v_add_co_u32 v3, vcc_lo, 0x800, v3
	v_add_co_ci_u32_e32 v4, vcc_lo, 0, v4, vcc_lo
	s_delay_alu instid0(VALU_DEP_3) | instskip(SKIP_3) | instid1(VALU_DEP_1)
	v_cmp_le_i32_e32 vcc_lo, s14, v0
	s_or_b32 s1, vcc_lo, s1
	s_waitcnt vmcnt(0)
	v_cvt_f32_f16_e32 v6, v6
	v_mul_f32_e32 v6, v5, v6
	s_delay_alu instid0(VALU_DEP_1) | instskip(NEXT) | instid1(VALU_DEP_1)
	v_rndne_f32_e32 v6, v6
	v_cvt_i32_f32_e32 v6, v6
	global_store_b8 v[1:2], v6, off
	v_add_co_u32 v1, s0, 0x400, v1
	s_delay_alu instid0(VALU_DEP_1)
	v_add_co_ci_u32_e64 v2, s0, 0, v2, s0
	s_and_not1_b32 exec_lo, exec_lo, s1
	s_cbranch_execnz .LBB4_17
.LBB4_18:
	s_nop 0
	s_sendmsg sendmsg(MSG_DEALLOC_VGPRS)
	s_endpgm
	.section	.rodata,"a",@progbits
	.p2align	6, 0x0
	.amdhsa_kernel _Z16kInt8VectorQuantI6__halfLi1024ELi0EEvPT_PaPffii
		.amdhsa_group_segment_fixed_size 132
		.amdhsa_private_segment_fixed_size 0
		.amdhsa_kernarg_size 36
		.amdhsa_user_sgpr_count 15
		.amdhsa_user_sgpr_dispatch_ptr 0
		.amdhsa_user_sgpr_queue_ptr 0
		.amdhsa_user_sgpr_kernarg_segment_ptr 1
		.amdhsa_user_sgpr_dispatch_id 0
		.amdhsa_user_sgpr_private_segment_size 0
		.amdhsa_wavefront_size32 1
		.amdhsa_uses_dynamic_stack 0
		.amdhsa_enable_private_segment 0
		.amdhsa_system_sgpr_workgroup_id_x 1
		.amdhsa_system_sgpr_workgroup_id_y 0
		.amdhsa_system_sgpr_workgroup_id_z 0
		.amdhsa_system_sgpr_workgroup_info 0
		.amdhsa_system_vgpr_workitem_id 0
		.amdhsa_next_free_vgpr 16
		.amdhsa_next_free_sgpr 16
		.amdhsa_reserve_vcc 1
		.amdhsa_float_round_mode_32 0
		.amdhsa_float_round_mode_16_64 0
		.amdhsa_float_denorm_mode_32 3
		.amdhsa_float_denorm_mode_16_64 3
		.amdhsa_dx10_clamp 1
		.amdhsa_ieee_mode 1
		.amdhsa_fp16_overflow 0
		.amdhsa_workgroup_processor_mode 1
		.amdhsa_memory_ordered 1
		.amdhsa_forward_progress 0
		.amdhsa_shared_vgpr_count 0
		.amdhsa_exception_fp_ieee_invalid_op 0
		.amdhsa_exception_fp_denorm_src 0
		.amdhsa_exception_fp_ieee_div_zero 0
		.amdhsa_exception_fp_ieee_overflow 0
		.amdhsa_exception_fp_ieee_underflow 0
		.amdhsa_exception_fp_ieee_inexact 0
		.amdhsa_exception_int_div_zero 0
	.end_amdhsa_kernel
	.section	.text._Z16kInt8VectorQuantI6__halfLi1024ELi0EEvPT_PaPffii,"axG",@progbits,_Z16kInt8VectorQuantI6__halfLi1024ELi0EEvPT_PaPffii,comdat
.Lfunc_end4:
	.size	_Z16kInt8VectorQuantI6__halfLi1024ELi0EEvPT_PaPffii, .Lfunc_end4-_Z16kInt8VectorQuantI6__halfLi1024ELi0EEvPT_PaPffii
                                        ; -- End function
	.section	.AMDGPU.csdata,"",@progbits
; Kernel info:
; codeLenInByte = 1812
; NumSgprs: 18
; NumVgprs: 16
; ScratchSize: 0
; MemoryBound: 0
; FloatMode: 240
; IeeeMode: 1
; LDSByteSize: 132 bytes/workgroup (compile time only)
; SGPRBlocks: 2
; VGPRBlocks: 1
; NumSGPRsForWavesPerEU: 18
; NumVGPRsForWavesPerEU: 16
; Occupancy: 16
; WaveLimiterHint : 0
; COMPUTE_PGM_RSRC2:SCRATCH_EN: 0
; COMPUTE_PGM_RSRC2:USER_SGPR: 15
; COMPUTE_PGM_RSRC2:TRAP_HANDLER: 0
; COMPUTE_PGM_RSRC2:TGID_X_EN: 1
; COMPUTE_PGM_RSRC2:TGID_Y_EN: 0
; COMPUTE_PGM_RSRC2:TGID_Z_EN: 0
; COMPUTE_PGM_RSRC2:TIDIG_COMP_CNT: 0
	.section	.text._Z16kInt8VectorQuantI6__halfLi1024ELi1EEvPT_PaPffii,"axG",@progbits,_Z16kInt8VectorQuantI6__halfLi1024ELi1EEvPT_PaPffii,comdat
